;; amdgpu-corpus repo=ROCm/rocFFT kind=compiled arch=gfx906 opt=O3
	.text
	.amdgcn_target "amdgcn-amd-amdhsa--gfx906"
	.amdhsa_code_object_version 6
	.protected	fft_rtc_fwd_len1386_factors_2_7_3_11_3_wgs_231_tpt_231_halfLds_sp_ip_CI_unitstride_sbrr_C2R_dirReg ; -- Begin function fft_rtc_fwd_len1386_factors_2_7_3_11_3_wgs_231_tpt_231_halfLds_sp_ip_CI_unitstride_sbrr_C2R_dirReg
	.globl	fft_rtc_fwd_len1386_factors_2_7_3_11_3_wgs_231_tpt_231_halfLds_sp_ip_CI_unitstride_sbrr_C2R_dirReg
	.p2align	8
	.type	fft_rtc_fwd_len1386_factors_2_7_3_11_3_wgs_231_tpt_231_halfLds_sp_ip_CI_unitstride_sbrr_C2R_dirReg,@function
fft_rtc_fwd_len1386_factors_2_7_3_11_3_wgs_231_tpt_231_halfLds_sp_ip_CI_unitstride_sbrr_C2R_dirReg: ; @fft_rtc_fwd_len1386_factors_2_7_3_11_3_wgs_231_tpt_231_halfLds_sp_ip_CI_unitstride_sbrr_C2R_dirReg
; %bb.0:
	s_load_dwordx2 s[2:3], s[4:5], 0x50
	s_load_dwordx4 s[8:11], s[4:5], 0x0
	s_load_dwordx2 s[12:13], s[4:5], 0x18
	v_mul_u32_u24_e32 v1, 0x11c, v0
	v_add_u32_sdwa v5, s6, v1 dst_sel:DWORD dst_unused:UNUSED_PAD src0_sel:DWORD src1_sel:WORD_1
	v_mov_b32_e32 v3, 0
	s_waitcnt lgkmcnt(0)
	v_cmp_lt_u64_e64 s[0:1], s[10:11], 2
	v_mov_b32_e32 v1, 0
	v_mov_b32_e32 v6, v3
	s_and_b64 vcc, exec, s[0:1]
	v_mov_b32_e32 v2, 0
	s_cbranch_vccnz .LBB0_8
; %bb.1:
	s_load_dwordx2 s[0:1], s[4:5], 0x10
	s_add_u32 s6, s12, 8
	s_addc_u32 s7, s13, 0
	v_mov_b32_e32 v1, 0
	v_mov_b32_e32 v2, 0
	s_waitcnt lgkmcnt(0)
	s_add_u32 s14, s0, 8
	s_addc_u32 s15, s1, 0
	s_mov_b64 s[16:17], 1
.LBB0_2:                                ; =>This Inner Loop Header: Depth=1
	s_load_dwordx2 s[18:19], s[14:15], 0x0
                                        ; implicit-def: $vgpr7_vgpr8
	s_waitcnt lgkmcnt(0)
	v_or_b32_e32 v4, s19, v6
	v_cmp_ne_u64_e32 vcc, 0, v[3:4]
	s_and_saveexec_b64 s[0:1], vcc
	s_xor_b64 s[20:21], exec, s[0:1]
	s_cbranch_execz .LBB0_4
; %bb.3:                                ;   in Loop: Header=BB0_2 Depth=1
	v_cvt_f32_u32_e32 v4, s18
	v_cvt_f32_u32_e32 v7, s19
	s_sub_u32 s0, 0, s18
	s_subb_u32 s1, 0, s19
	v_mac_f32_e32 v4, 0x4f800000, v7
	v_rcp_f32_e32 v4, v4
	v_mul_f32_e32 v4, 0x5f7ffffc, v4
	v_mul_f32_e32 v7, 0x2f800000, v4
	v_trunc_f32_e32 v7, v7
	v_mac_f32_e32 v4, 0xcf800000, v7
	v_cvt_u32_f32_e32 v7, v7
	v_cvt_u32_f32_e32 v4, v4
	v_mul_lo_u32 v8, s0, v7
	v_mul_hi_u32 v9, s0, v4
	v_mul_lo_u32 v11, s1, v4
	v_mul_lo_u32 v10, s0, v4
	v_add_u32_e32 v8, v9, v8
	v_add_u32_e32 v8, v8, v11
	v_mul_hi_u32 v9, v4, v10
	v_mul_lo_u32 v11, v4, v8
	v_mul_hi_u32 v13, v4, v8
	v_mul_hi_u32 v12, v7, v10
	v_mul_lo_u32 v10, v7, v10
	v_mul_hi_u32 v14, v7, v8
	v_add_co_u32_e32 v9, vcc, v9, v11
	v_addc_co_u32_e32 v11, vcc, 0, v13, vcc
	v_mul_lo_u32 v8, v7, v8
	v_add_co_u32_e32 v9, vcc, v9, v10
	v_addc_co_u32_e32 v9, vcc, v11, v12, vcc
	v_addc_co_u32_e32 v10, vcc, 0, v14, vcc
	v_add_co_u32_e32 v8, vcc, v9, v8
	v_addc_co_u32_e32 v9, vcc, 0, v10, vcc
	v_add_co_u32_e32 v4, vcc, v4, v8
	v_addc_co_u32_e32 v7, vcc, v7, v9, vcc
	v_mul_lo_u32 v8, s0, v7
	v_mul_hi_u32 v9, s0, v4
	v_mul_lo_u32 v10, s1, v4
	v_mul_lo_u32 v11, s0, v4
	v_add_u32_e32 v8, v9, v8
	v_add_u32_e32 v8, v8, v10
	v_mul_lo_u32 v12, v4, v8
	v_mul_hi_u32 v13, v4, v11
	v_mul_hi_u32 v14, v4, v8
	;; [unrolled: 1-line block ×3, first 2 shown]
	v_mul_lo_u32 v11, v7, v11
	v_mul_hi_u32 v9, v7, v8
	v_add_co_u32_e32 v12, vcc, v13, v12
	v_addc_co_u32_e32 v13, vcc, 0, v14, vcc
	v_mul_lo_u32 v8, v7, v8
	v_add_co_u32_e32 v11, vcc, v12, v11
	v_addc_co_u32_e32 v10, vcc, v13, v10, vcc
	v_addc_co_u32_e32 v9, vcc, 0, v9, vcc
	v_add_co_u32_e32 v8, vcc, v10, v8
	v_addc_co_u32_e32 v9, vcc, 0, v9, vcc
	v_add_co_u32_e32 v4, vcc, v4, v8
	v_addc_co_u32_e32 v9, vcc, v7, v9, vcc
	v_mad_u64_u32 v[7:8], s[0:1], v5, v9, 0
	v_mul_hi_u32 v10, v5, v4
	v_add_co_u32_e32 v11, vcc, v10, v7
	v_addc_co_u32_e32 v12, vcc, 0, v8, vcc
	v_mad_u64_u32 v[7:8], s[0:1], v6, v4, 0
	v_mad_u64_u32 v[9:10], s[0:1], v6, v9, 0
	v_add_co_u32_e32 v4, vcc, v11, v7
	v_addc_co_u32_e32 v4, vcc, v12, v8, vcc
	v_addc_co_u32_e32 v7, vcc, 0, v10, vcc
	v_add_co_u32_e32 v4, vcc, v4, v9
	v_addc_co_u32_e32 v9, vcc, 0, v7, vcc
	v_mul_lo_u32 v10, s19, v4
	v_mul_lo_u32 v11, s18, v9
	v_mad_u64_u32 v[7:8], s[0:1], s18, v4, 0
	v_add3_u32 v8, v8, v11, v10
	v_sub_u32_e32 v10, v6, v8
	v_mov_b32_e32 v11, s19
	v_sub_co_u32_e32 v7, vcc, v5, v7
	v_subb_co_u32_e64 v10, s[0:1], v10, v11, vcc
	v_subrev_co_u32_e64 v11, s[0:1], s18, v7
	v_subbrev_co_u32_e64 v10, s[0:1], 0, v10, s[0:1]
	v_cmp_le_u32_e64 s[0:1], s19, v10
	v_cndmask_b32_e64 v12, 0, -1, s[0:1]
	v_cmp_le_u32_e64 s[0:1], s18, v11
	v_cndmask_b32_e64 v11, 0, -1, s[0:1]
	v_cmp_eq_u32_e64 s[0:1], s19, v10
	v_cndmask_b32_e64 v10, v12, v11, s[0:1]
	v_add_co_u32_e64 v11, s[0:1], 2, v4
	v_addc_co_u32_e64 v12, s[0:1], 0, v9, s[0:1]
	v_add_co_u32_e64 v13, s[0:1], 1, v4
	v_addc_co_u32_e64 v14, s[0:1], 0, v9, s[0:1]
	v_subb_co_u32_e32 v8, vcc, v6, v8, vcc
	v_cmp_ne_u32_e64 s[0:1], 0, v10
	v_cmp_le_u32_e32 vcc, s19, v8
	v_cndmask_b32_e64 v10, v14, v12, s[0:1]
	v_cndmask_b32_e64 v12, 0, -1, vcc
	v_cmp_le_u32_e32 vcc, s18, v7
	v_cndmask_b32_e64 v7, 0, -1, vcc
	v_cmp_eq_u32_e32 vcc, s19, v8
	v_cndmask_b32_e32 v7, v12, v7, vcc
	v_cmp_ne_u32_e32 vcc, 0, v7
	v_cndmask_b32_e64 v7, v13, v11, s[0:1]
	v_cndmask_b32_e32 v8, v9, v10, vcc
	v_cndmask_b32_e32 v7, v4, v7, vcc
.LBB0_4:                                ;   in Loop: Header=BB0_2 Depth=1
	s_andn2_saveexec_b64 s[0:1], s[20:21]
	s_cbranch_execz .LBB0_6
; %bb.5:                                ;   in Loop: Header=BB0_2 Depth=1
	v_cvt_f32_u32_e32 v4, s18
	s_sub_i32 s20, 0, s18
	v_rcp_iflag_f32_e32 v4, v4
	v_mul_f32_e32 v4, 0x4f7ffffe, v4
	v_cvt_u32_f32_e32 v4, v4
	v_mul_lo_u32 v7, s20, v4
	v_mul_hi_u32 v7, v4, v7
	v_add_u32_e32 v4, v4, v7
	v_mul_hi_u32 v4, v5, v4
	v_mul_lo_u32 v7, v4, s18
	v_add_u32_e32 v8, 1, v4
	v_sub_u32_e32 v7, v5, v7
	v_subrev_u32_e32 v9, s18, v7
	v_cmp_le_u32_e32 vcc, s18, v7
	v_cndmask_b32_e32 v7, v7, v9, vcc
	v_cndmask_b32_e32 v4, v4, v8, vcc
	v_add_u32_e32 v8, 1, v4
	v_cmp_le_u32_e32 vcc, s18, v7
	v_cndmask_b32_e32 v7, v4, v8, vcc
	v_mov_b32_e32 v8, v3
.LBB0_6:                                ;   in Loop: Header=BB0_2 Depth=1
	s_or_b64 exec, exec, s[0:1]
	v_mul_lo_u32 v4, v8, s18
	v_mul_lo_u32 v11, v7, s19
	v_mad_u64_u32 v[9:10], s[0:1], v7, s18, 0
	s_load_dwordx2 s[0:1], s[6:7], 0x0
	s_add_u32 s16, s16, 1
	v_add3_u32 v4, v10, v11, v4
	v_sub_co_u32_e32 v5, vcc, v5, v9
	v_subb_co_u32_e32 v4, vcc, v6, v4, vcc
	s_waitcnt lgkmcnt(0)
	v_mul_lo_u32 v4, s0, v4
	v_mul_lo_u32 v6, s1, v5
	v_mad_u64_u32 v[1:2], s[0:1], s0, v5, v[1:2]
	s_addc_u32 s17, s17, 0
	s_add_u32 s6, s6, 8
	v_add3_u32 v2, v6, v2, v4
	v_mov_b32_e32 v4, s10
	v_mov_b32_e32 v5, s11
	s_addc_u32 s7, s7, 0
	v_cmp_ge_u64_e32 vcc, s[16:17], v[4:5]
	s_add_u32 s14, s14, 8
	s_addc_u32 s15, s15, 0
	s_cbranch_vccnz .LBB0_9
; %bb.7:                                ;   in Loop: Header=BB0_2 Depth=1
	v_mov_b32_e32 v5, v7
	v_mov_b32_e32 v6, v8
	s_branch .LBB0_2
.LBB0_8:
	v_mov_b32_e32 v8, v6
	v_mov_b32_e32 v7, v5
.LBB0_9:
	s_lshl_b64 s[0:1], s[10:11], 3
	s_add_u32 s0, s12, s0
	s_addc_u32 s1, s13, s1
	s_load_dwordx2 s[6:7], s[0:1], 0x0
	s_load_dwordx2 s[10:11], s[4:5], 0x20
	s_waitcnt lgkmcnt(0)
	v_mad_u64_u32 v[1:2], s[0:1], s6, v7, v[1:2]
	v_mul_lo_u32 v3, s6, v8
	v_mul_lo_u32 v4, s7, v7
	s_mov_b32 s0, 0x11bb4a5
	v_mul_hi_u32 v5, v0, s0
	v_cmp_gt_u64_e64 s[0:1], s[10:11], v[7:8]
	v_add3_u32 v2, v4, v2, v3
	v_lshlrev_b64 v[24:25], 3, v[1:2]
	v_mul_u32_u24_e32 v3, 0xe7, v5
	v_sub_u32_e32 v22, v0, v3
	s_and_saveexec_b64 s[4:5], s[0:1]
	s_cbranch_execz .LBB0_13
; %bb.10:
	v_mov_b32_e32 v23, 0
	v_mov_b32_e32 v0, s3
	v_add_co_u32_e32 v1, vcc, s2, v24
	v_lshlrev_b64 v[2:3], 3, v[22:23]
	v_addc_co_u32_e32 v0, vcc, v0, v25, vcc
	v_add_co_u32_e32 v2, vcc, v1, v2
	v_addc_co_u32_e32 v3, vcc, v0, v3, vcc
	s_movk_i32 s6, 0x1000
	v_add_co_u32_e32 v4, vcc, s6, v2
	v_addc_co_u32_e32 v5, vcc, 0, v3, vcc
	global_load_dwordx2 v[6:7], v[2:3], off
	global_load_dwordx2 v[8:9], v[2:3], off offset:1848
	global_load_dwordx2 v[10:11], v[2:3], off offset:3696
	;; [unrolled: 1-line block ×3, first 2 shown]
	v_add_co_u32_e32 v2, vcc, 0x2000, v2
	v_addc_co_u32_e32 v3, vcc, 0, v3, vcc
	global_load_dwordx2 v[14:15], v[4:5], off offset:3296
	global_load_dwordx2 v[16:17], v[2:3], off offset:1048
	s_movk_i32 s6, 0xe6
	v_lshl_add_u32 v2, v22, 3, 0
	v_cmp_eq_u32_e32 vcc, s6, v22
	v_add_u32_e32 v3, 0xe00, v2
	v_add_u32_e32 v4, 0x1c80, v2
	s_waitcnt vmcnt(4)
	ds_write2_b64 v2, v[6:7], v[8:9] offset1:231
	s_waitcnt vmcnt(2)
	ds_write2_b64 v3, v[10:11], v[12:13] offset0:14 offset1:245
	s_waitcnt vmcnt(0)
	ds_write2_b64 v4, v[14:15], v[16:17] offset0:12 offset1:243
	s_and_saveexec_b64 s[6:7], vcc
	s_cbranch_execz .LBB0_12
; %bb.11:
	v_add_co_u32_e32 v1, vcc, 0x2000, v1
	v_addc_co_u32_e32 v2, vcc, 0, v0, vcc
	global_load_dwordx2 v[0:1], v[1:2], off offset:2896
	v_mov_b32_e32 v22, 0xe6
	s_waitcnt vmcnt(0)
	ds_write_b64 v23, v[0:1] offset:11088
.LBB0_12:
	s_or_b64 exec, exec, s[6:7]
.LBB0_13:
	s_or_b64 exec, exec, s[4:5]
	v_lshlrev_b32_e32 v0, 3, v22
	v_add_u32_e32 v28, 0, v0
	s_waitcnt lgkmcnt(0)
	s_barrier
	v_sub_u32_e32 v4, 0, v0
	ds_read_b32 v5, v28
	ds_read_b32 v6, v4 offset:11088
	s_add_u32 s6, s8, 0x2b40
	s_addc_u32 s7, s9, 0
	v_cmp_ne_u32_e32 vcc, 0, v22
                                        ; implicit-def: $vgpr2_vgpr3
	s_waitcnt lgkmcnt(0)
	v_add_f32_e32 v0, v6, v5
	v_sub_f32_e32 v1, v5, v6
	s_and_saveexec_b64 s[4:5], vcc
	s_xor_b64 s[4:5], exec, s[4:5]
	s_cbranch_execz .LBB0_15
; %bb.14:
	v_mov_b32_e32 v23, 0
	v_lshlrev_b64 v[0:1], 3, v[22:23]
	v_mov_b32_e32 v2, s7
	v_add_co_u32_e32 v0, vcc, s6, v0
	v_addc_co_u32_e32 v1, vcc, v2, v1, vcc
	global_load_dwordx2 v[2:3], v[0:1], off
	ds_read_b32 v0, v4 offset:11092
	ds_read_b32 v1, v28 offset:4
	v_add_f32_e32 v7, v6, v5
	v_sub_f32_e32 v8, v5, v6
	s_waitcnt lgkmcnt(0)
	v_add_f32_e32 v9, v0, v1
	v_sub_f32_e32 v0, v1, v0
	s_waitcnt vmcnt(0)
	v_fma_f32 v10, v8, v3, v7
	v_fma_f32 v1, v9, v3, v0
	v_fma_f32 v5, -v8, v3, v7
	v_fma_f32 v6, v9, v3, -v0
	v_fma_f32 v0, -v2, v9, v10
	v_fmac_f32_e32 v1, v8, v2
	v_fmac_f32_e32 v5, v2, v9
	v_fmac_f32_e32 v6, v8, v2
	v_mov_b32_e32 v2, v22
	ds_write_b64 v4, v[5:6] offset:11088
	v_mov_b32_e32 v3, v23
.LBB0_15:
	s_andn2_saveexec_b64 s[4:5], s[4:5]
	s_cbranch_execz .LBB0_17
; %bb.16:
	v_mov_b32_e32 v7, 0
	ds_read_b64 v[2:3], v7 offset:5544
	s_waitcnt lgkmcnt(0)
	v_add_f32_e32 v5, v2, v2
	v_mul_f32_e32 v6, -2.0, v3
	v_mov_b32_e32 v2, 0
	v_mov_b32_e32 v3, 0
	ds_write_b64 v7, v[5:6] offset:5544
.LBB0_17:
	s_or_b64 exec, exec, s[4:5]
	v_lshlrev_b64 v[2:3], 3, v[2:3]
	v_mov_b32_e32 v5, s7
	v_add_co_u32_e32 v2, vcc, s6, v2
	v_addc_co_u32_e32 v3, vcc, v5, v3, vcc
	global_load_dwordx2 v[5:6], v[2:3], off offset:1848
	global_load_dwordx2 v[7:8], v[2:3], off offset:3696
	ds_write_b64 v28, v[0:1]
	ds_read_b64 v[0:1], v28 offset:1848
	ds_read_b64 v[2:3], v4 offset:9240
	v_add_u32_e32 v9, 0x1c80, v28
	v_add_u32_e32 v10, 0xe00, v28
	s_movk_i32 s4, 0xc6
	v_add_u32_e32 v23, 0xe7, v22
	s_waitcnt lgkmcnt(0)
	v_add_f32_e32 v11, v0, v2
	v_add_f32_e32 v12, v3, v1
	v_sub_f32_e32 v13, v0, v2
	v_sub_f32_e32 v0, v1, v3
	v_lshl_add_u32 v20, v22, 3, v28
	v_cmp_gt_u32_e32 vcc, s4, v22
	v_lshl_add_u32 v21, v23, 4, 0
	s_waitcnt vmcnt(1)
	v_fma_f32 v14, v13, v6, v11
	v_fma_f32 v1, v12, v6, v0
	v_fma_f32 v2, -v13, v6, v11
	v_fma_f32 v3, v12, v6, -v0
	v_fma_f32 v0, -v5, v12, v14
	v_fmac_f32_e32 v1, v13, v5
	v_fmac_f32_e32 v2, v5, v12
	;; [unrolled: 1-line block ×3, first 2 shown]
	ds_write_b64 v28, v[0:1] offset:1848
	ds_write_b64 v4, v[2:3] offset:9240
	ds_read_b64 v[0:1], v28 offset:3696
	ds_read_b64 v[2:3], v4 offset:7392
	v_lshl_add_u32 v5, v22, 4, 0
	v_add_u32_e32 v26, 0x1ce0, v5
	s_waitcnt lgkmcnt(0)
	v_add_f32_e32 v5, v0, v2
	v_add_f32_e32 v6, v3, v1
	v_sub_f32_e32 v11, v0, v2
	v_sub_f32_e32 v0, v1, v3
	s_waitcnt vmcnt(0)
	v_fma_f32 v12, v11, v8, v5
	v_fma_f32 v1, v6, v8, v0
	v_fma_f32 v2, -v11, v8, v5
	v_fma_f32 v3, v6, v8, -v0
	v_fma_f32 v0, -v7, v6, v12
	v_fmac_f32_e32 v1, v11, v7
	v_fmac_f32_e32 v2, v7, v6
	;; [unrolled: 1-line block ×3, first 2 shown]
	ds_write_b64 v28, v[0:1] offset:3696
	ds_write_b64 v4, v[2:3] offset:7392
	s_waitcnt lgkmcnt(0)
	s_barrier
	s_barrier
	ds_read2_b64 v[12:15], v28 offset1:231
	ds_read2_b64 v[0:3], v9 offset0:12 offset1:243
	ds_read2_b64 v[16:19], v10 offset0:14 offset1:245
	s_waitcnt lgkmcnt(0)
	s_barrier
	v_sub_f32_e32 v6, v14, v0
	v_sub_f32_e32 v7, v15, v1
	;; [unrolled: 1-line block ×6, first 2 shown]
	v_fma_f32 v0, v12, 2.0, -v2
	v_fma_f32 v1, v13, 2.0, -v3
	;; [unrolled: 1-line block ×6, first 2 shown]
	ds_write2_b64 v20, v[0:1], v[2:3] offset1:1
	ds_write2_b64 v21, v[4:5], v[6:7] offset1:1
	;; [unrolled: 1-line block ×3, first 2 shown]
	s_waitcnt lgkmcnt(0)
	s_barrier
	s_waitcnt lgkmcnt(0)
                                        ; implicit-def: $vgpr13
	s_and_saveexec_b64 s[4:5], vcc
	s_cbranch_execz .LBB0_19
; %bb.18:
	v_add_u32_e32 v4, 0xc00, v28
	v_add_u32_e32 v8, 0x1800, v28
	ds_read2_b64 v[0:3], v28 offset1:198
	ds_read2_b64 v[4:7], v4 offset0:12 offset1:210
	ds_read2_b64 v[8:11], v8 offset0:24 offset1:222
	ds_read_b64 v[12:13], v28 offset:9504
.LBB0_19:
	s_or_b64 exec, exec, s[4:5]
	v_and_b32_e32 v14, 1, v22
	v_mul_u32_u24_e32 v15, 6, v14
	v_lshlrev_b32_e32 v19, 3, v15
	global_load_dwordx4 v[15:18], v19, s[8:9] offset:32
	global_load_dwordx4 v[29:32], v19, s[8:9] offset:16
	global_load_dwordx4 v[33:36], v19, s[8:9]
	s_waitcnt vmcnt(0) lgkmcnt(0)
	s_barrier
	v_mul_f32_e32 v19, v13, v18
	v_mul_f32_e32 v18, v12, v18
	v_mul_f32_e32 v20, v11, v16
	v_mul_f32_e32 v16, v10, v16
	v_mul_f32_e32 v21, v9, v32
	v_mul_f32_e32 v26, v8, v32
	v_mul_f32_e32 v32, v5, v36
	v_mul_f32_e32 v36, v4, v36
	v_mul_f32_e32 v37, v3, v34
	v_mul_f32_e32 v34, v2, v34
	v_mul_f32_e32 v27, v7, v30
	v_mul_f32_e32 v30, v6, v30
	v_fma_f32 v12, v12, v17, -v19
	v_fmac_f32_e32 v18, v13, v17
	v_fma_f32 v10, v10, v15, -v20
	v_fmac_f32_e32 v16, v11, v15
	;; [unrolled: 2-line block ×6, first 2 shown]
	v_add_f32_e32 v2, v5, v12
	v_add_f32_e32 v3, v4, v10
	;; [unrolled: 1-line block ×6, first 2 shown]
	v_sub_f32_e32 v12, v5, v12
	v_sub_f32_e32 v6, v34, v18
	;; [unrolled: 1-line block ×6, first 2 shown]
	v_add_f32_e32 v10, v3, v2
	v_add_f32_e32 v11, v9, v8
	v_sub_f32_e32 v15, v2, v17
	v_sub_f32_e32 v18, v8, v19
	;; [unrolled: 1-line block ×3, first 2 shown]
	v_add_f32_e32 v16, v4, v13
	v_sub_f32_e32 v21, v4, v13
	v_sub_f32_e32 v4, v12, v4
	v_add_f32_e32 v29, v5, v7
	v_sub_f32_e32 v27, v5, v7
	v_sub_f32_e32 v5, v6, v5
	v_add_f32_e32 v34, v17, v10
	v_add_f32_e32 v19, v19, v11
	v_sub_f32_e32 v20, v17, v3
	v_add_f32_e32 v32, v16, v12
	v_add_f32_e32 v33, v29, v6
	v_mul_f32_e32 v16, 0x3f4a47b2, v15
	v_mul_f32_e32 v29, 0x3f4a47b2, v18
	;; [unrolled: 1-line block ×4, first 2 shown]
	v_add_f32_e32 v0, v0, v34
	v_add_f32_e32 v1, v1, v19
	v_mov_b32_e32 v4, v16
	v_mov_b32_e32 v5, v29
	;; [unrolled: 1-line block ×6, first 2 shown]
	v_fmac_f32_e32 v4, 0x3d64c772, v20
	v_fmac_f32_e32 v5, 0x3d64c772, v26
	;; [unrolled: 1-line block ×8, first 2 shown]
	v_add_f32_e32 v18, v4, v15
	v_add_f32_e32 v19, v5, v30
	v_sub_f32_e32 v4, v18, v11
	v_add_f32_e32 v5, v10, v19
	s_and_saveexec_b64 s[4:5], vcc
	s_cbranch_execz .LBB0_21
; %bb.20:
	v_sub_f32_e32 v8, v9, v8
	s_mov_b32 s7, 0xbf3bfb3b
	v_fma_f32 v9, v8, s7, -v29
	v_add_f32_e32 v29, v9, v30
	v_sub_f32_e32 v9, v3, v2
	v_sub_f32_e32 v12, v13, v12
	s_mov_b32 s6, 0xbf5ff5aa
	v_fma_f32 v2, v9, s7, -v16
	v_sub_f32_e32 v6, v7, v6
	v_mul_f32_e32 v13, 0x3d64c772, v20
	v_mul_f32_e32 v20, 0x3d64c772, v26
	v_fma_f32 v31, v12, s6, -v31
	v_add_f32_e32 v16, v2, v15
	v_fma_f32 v2, v6, s6, -v17
	s_mov_b32 s6, 0x3f3bfb3b
	v_mul_f32_e32 v21, 0xbf08b237, v21
	v_fma_f32 v7, v8, s6, -v20
	s_mov_b32 s7, 0x3f5ff5aa
	v_mul_f32_e32 v26, 0x3ee1c552, v32
	v_mul_f32_e32 v32, 0x3ee1c552, v33
	;; [unrolled: 1-line block ×3, first 2 shown]
	v_add_f32_e32 v8, v7, v30
	v_fma_f32 v7, v12, s7, -v21
	v_add_f32_e32 v17, v32, v2
	v_add_f32_e32 v12, v26, v7
	v_fma_f32 v6, v6, s7, -v27
	v_sub_f32_e32 v2, v16, v17
	v_sub_f32_e32 v7, v8, v12
	v_add_f32_e32 v20, v32, v6
	v_fma_f32 v6, v9, s6, -v13
	v_add_f32_e32 v9, v12, v8
	v_add_f32_e32 v12, v17, v16
	v_sub_f32_e32 v16, v19, v10
	v_lshrrev_b32_e32 v10, 1, v22
	v_mul_u32_u24_e32 v10, 14, v10
	v_or_b32_e32 v10, v10, v14
	v_add_f32_e32 v31, v26, v31
	v_add_f32_e32 v13, v6, v15
	v_add_f32_e32 v15, v11, v18
	v_lshl_add_u32 v10, v10, 3, 0
	v_add_f32_e32 v3, v31, v29
	v_add_f32_e32 v6, v20, v13
	v_sub_f32_e32 v8, v13, v20
	v_sub_f32_e32 v13, v29, v31
	ds_write2_b64 v10, v[0:1], v[15:16] offset1:2
	ds_write2_b64 v10, v[12:13], v[8:9] offset0:4 offset1:6
	ds_write2_b64 v10, v[6:7], v[2:3] offset0:8 offset1:10
	ds_write_b64 v10, v[4:5] offset:96
.LBB0_21:
	s_or_b64 exec, exec, s[4:5]
	v_lshrrev_b16_e32 v0, 1, v22
	v_and_b32_e32 v29, 0x7f, v0
	v_lshrrev_b16_e32 v1, 1, v23
	v_mul_lo_u16_e32 v0, 0x93, v29
	v_mul_u32_u24_e32 v1, 0x4925, v1
	v_lshrrev_b16_e32 v10, 10, v0
	v_lshrrev_b32_e32 v20, 17, v1
	v_mul_lo_u16_e32 v0, 14, v10
	v_mul_lo_u16_e32 v6, 14, v20
	v_sub_u16_e32 v11, v22, v0
	v_mov_b32_e32 v0, 4
	v_sub_u16_e32 v21, v23, v6
	v_lshlrev_b32_sdwa v0, v0, v11 dst_sel:DWORD dst_unused:UNUSED_PAD src0_sel:DWORD src1_sel:BYTE_0
	v_lshlrev_b32_e32 v6, 4, v21
	s_waitcnt lgkmcnt(0)
	s_barrier
	global_load_dwordx4 v[0:3], v0, s[8:9] offset:96
	v_add_u32_e32 v12, 0x700, v28
	global_load_dwordx4 v[16:19], v6, s[8:9] offset:96
	v_add_u32_e32 v26, 0x1500, v28
	ds_read2_b32 v[8:9], v28 offset1:1
	ds_read_b64 v[6:7], v28 offset:9240
	ds_read2_b64 v[12:15], v12 offset0:7 offset1:238
	ds_read2_b64 v[30:33], v26 offset0:21 offset1:252
	v_mov_b32_e32 v27, 3
	v_mul_u32_u24_e32 v20, 0x150, v20
	v_mul_u32_u24_e32 v10, 0x150, v10
	v_lshlrev_b32_e32 v21, 3, v21
	v_lshlrev_b32_sdwa v11, v27, v11 dst_sel:DWORD dst_unused:UNUSED_PAD src0_sel:DWORD src1_sel:BYTE_0
	v_add3_u32 v20, 0, v20, v21
	v_add3_u32 v21, 0, v10, v11
	s_movk_i32 s4, 0x7e
	v_cmp_gt_u32_e32 vcc, s4, v22
	s_waitcnt vmcnt(0) lgkmcnt(0)
	s_barrier
	v_mul_f32_e32 v10, v1, v15
	v_mul_f32_e32 v1, v1, v14
	;; [unrolled: 1-line block ×8, first 2 shown]
	v_fma_f32 v10, v0, v14, -v10
	v_fmac_f32_e32 v1, v0, v15
	v_fma_f32 v0, v2, v32, -v11
	v_fmac_f32_e32 v3, v2, v33
	;; [unrolled: 2-line block ×4, first 2 shown]
	v_add_f32_e32 v11, v10, v0
	v_add_f32_e32 v15, v1, v3
	;; [unrolled: 1-line block ×3, first 2 shown]
	v_sub_f32_e32 v27, v17, v19
	v_add_f32_e32 v30, v13, v17
	v_add_f32_e32 v17, v17, v19
	;; [unrolled: 1-line block ×4, first 2 shown]
	v_sub_f32_e32 v18, v10, v0
	v_add_f32_e32 v10, v12, v2
	v_fma_f32 v8, -0.5, v11, v8
	v_fmac_f32_e32 v9, -0.5, v15
	v_fma_f32 v12, -0.5, v26, v12
	v_fmac_f32_e32 v13, -0.5, v17
	v_sub_f32_e32 v16, v1, v3
	v_sub_f32_e32 v31, v2, v6
	v_add_f32_e32 v1, v14, v3
	v_mov_b32_e32 v2, v8
	v_mov_b32_e32 v3, v9
	;; [unrolled: 1-line block ×4, first 2 shown]
	v_add_f32_e32 v0, v7, v0
	v_add_f32_e32 v10, v10, v6
	;; [unrolled: 1-line block ×3, first 2 shown]
	v_fmac_f32_e32 v8, 0xbf5db3d7, v16
	v_fmac_f32_e32 v9, 0x3f5db3d7, v18
	;; [unrolled: 1-line block ×8, first 2 shown]
	ds_write_b64 v21, v[8:9] offset:224
	ds_write2_b64 v21, v[0:1], v[2:3] offset1:14
	ds_write2_b64 v20, v[10:11], v[14:15] offset1:14
	ds_write_b64 v20, v[12:13] offset:224
	s_waitcnt lgkmcnt(0)
	s_barrier
	s_waitcnt lgkmcnt(0)
                                        ; implicit-def: $vgpr27
                                        ; implicit-def: $vgpr21
	s_and_saveexec_b64 s[4:5], vcc
	s_cbranch_execz .LBB0_23
; %bb.22:
	v_add_u32_e32 v4, 0x400, v28
	ds_read2_b64 v[8:11], v4 offset0:124 offset1:250
	v_add_u32_e32 v4, 0xc00, v28
	ds_read2_b64 v[14:17], v4 offset0:120 offset1:246
	v_add_u32_e32 v4, 0x1400, v28
	v_add_u32_e32 v12, 0x1c00, v28
	ds_read2_b64 v[0:3], v28 offset1:126
	ds_read2_b64 v[4:7], v4 offset0:116 offset1:242
	ds_read2_b64 v[18:21], v12 offset0:112 offset1:238
	ds_read_b64 v[26:27], v28 offset:10080
	s_waitcnt lgkmcnt(4)
	v_mov_b32_e32 v13, v17
	v_mov_b32_e32 v12, v16
.LBB0_23:
	s_or_b64 exec, exec, s[4:5]
	v_lshlrev_b32_e32 v16, 1, v23
	s_waitcnt lgkmcnt(0)
	s_barrier
	s_and_saveexec_b64 s[4:5], vcc
	s_cbranch_execz .LBB0_25
; %bb.24:
	v_mul_lo_u16_e32 v17, 49, v29
	v_lshrrev_b16_e32 v17, 10, v17
	v_mul_lo_u16_e32 v23, 42, v17
	v_sub_u16_e32 v23, v22, v23
	v_mov_b32_e32 v29, 10
	v_mul_u32_u24_sdwa v29, v23, v29 dst_sel:DWORD dst_unused:UNUSED_PAD src0_sel:BYTE_0 src1_sel:DWORD
	v_lshlrev_b32_e32 v29, 3, v29
	global_load_dwordx4 v[38:41], v29, s[8:9] offset:352
	global_load_dwordx4 v[42:45], v29, s[8:9] offset:368
	;; [unrolled: 1-line block ×5, first 2 shown]
	s_mov_b32 s12, 0x3f575c64
	s_mov_b32 s6, 0xbf75a155
	;; [unrolled: 1-line block ×5, first 2 shown]
	v_mul_u32_u24_e32 v17, 0xe70, v17
	s_waitcnt vmcnt(4)
	v_mul_f32_e32 v58, v13, v39
	v_mul_f32_e32 v30, v12, v39
	v_mul_f32_e32 v39, v5, v41
	v_mul_f32_e32 v31, v4, v41
	s_waitcnt vmcnt(3)
	v_mul_f32_e32 v41, v7, v43
	v_mul_f32_e32 v32, v6, v43
	v_mul_f32_e32 v43, v19, v45
	v_mul_f32_e32 v33, v18, v45
	;; [unrolled: 5-line block ×5, first 2 shown]
	v_fmac_f32_e32 v29, v27, v48
	v_fmac_f32_e32 v55, v3, v54
	;; [unrolled: 1-line block ×3, first 2 shown]
	v_fma_f32 v7, v26, v48, -v47
	v_fmac_f32_e32 v36, v11, v50
	v_fma_f32 v2, v2, v54, -v57
	v_sub_f32_e32 v11, v55, v29
	v_fma_f32 v12, v12, v38, -v58
	v_fmac_f32_e32 v30, v13, v38
	v_fma_f32 v4, v4, v40, -v39
	v_fmac_f32_e32 v35, v15, v52
	v_sub_f32_e32 v3, v2, v7
	v_add_f32_e32 v15, v2, v7
	v_mul_f32_e32 v26, 0xbe903f40, v11
	v_mul_f32_e32 v27, 0xbf4178ce, v11
	;; [unrolled: 1-line block ×5, first 2 shown]
	v_fmac_f32_e32 v31, v5, v40
	v_fma_f32 v5, v6, v42, -v41
	v_fma_f32 v6, v18, v44, -v43
	v_fmac_f32_e32 v33, v19, v44
	v_fma_f32 v13, v20, v46, -v45
	v_fmac_f32_e32 v34, v21, v46
	v_fma_f32 v8, v8, v56, -v51
	v_mul_f32_e32 v18, 0xbe903f40, v3
	v_mul_f32_e32 v19, 0xbf4178ce, v3
	v_mul_f32_e32 v20, 0xbf7d64f0, v3
	v_mul_f32_e32 v21, 0xbf68dda4, v3
	v_mul_f32_e32 v3, 0xbf0a6770, v3
	v_fma_f32 v48, v15, s12, -v11
	v_fmac_f32_e32 v11, 0x3f575c64, v15
	v_fmac_f32_e32 v37, v9, v56
	v_add_f32_e32 v9, v55, v29
	v_mov_b32_e32 v40, v18
	v_mov_b32_e32 v41, v19
	;; [unrolled: 1-line block ×5, first 2 shown]
	v_add_f32_e32 v57, v0, v11
	v_sub_f32_e32 v11, v8, v13
	v_fma_f32 v18, v9, s6, -v18
	v_fma_f32 v19, v9, s7, -v19
	;; [unrolled: 1-line block ×6, first 2 shown]
	v_fmac_f32_e32 v26, 0xbf75a155, v15
	v_fma_f32 v46, v15, s7, -v27
	v_fmac_f32_e32 v27, 0xbf27a4f4, v15
	v_fma_f32 v47, v15, s11, -v38
	v_fmac_f32_e32 v38, 0xbe11bafb, v15
	v_fmac_f32_e32 v40, 0xbf75a155, v9
	;; [unrolled: 1-line block ×6, first 2 shown]
	v_fma_f32 v9, v15, s10, -v39
	v_fmac_f32_e32 v39, 0x3ed4b147, v15
	v_mul_f32_e32 v58, 0x3f0a6770, v11
	v_fma_f32 v14, v14, v52, -v49
	v_fma_f32 v10, v10, v50, -v53
	v_add_f32_e32 v15, v1, v40
	v_add_f32_e32 v40, v0, v45
	;; [unrolled: 1-line block ×12, first 2 shown]
	v_mov_b32_e32 v0, v58
	v_fmac_f32_e32 v0, 0x3f575c64, v59
	v_add_f32_e32 v0, v0, v15
	v_sub_f32_e32 v15, v10, v6
	v_mul_f32_e32 v60, 0xbf4178ce, v15
	v_add_f32_e32 v41, v1, v41
	v_add_f32_e32 v42, v1, v42
	;; [unrolled: 1-line block ×11, first 2 shown]
	v_mov_b32_e32 v1, v60
	v_sub_f32_e32 v26, v14, v5
	v_fmac_f32_e32 v1, 0xbf27a4f4, v61
	v_mul_f32_e32 v62, 0x3f68dda4, v26
	v_add_f32_e32 v0, v1, v0
	v_add_f32_e32 v63, v35, v32
	v_mov_b32_e32 v1, v62
	v_sub_f32_e32 v27, v37, v34
	v_fmac_f32_e32 v1, 0x3ed4b147, v63
	v_add_f32_e32 v64, v8, v13
	v_mul_f32_e32 v65, 0x3f0a6770, v27
	v_add_f32_e32 v0, v1, v0
	v_fma_f32 v1, v64, s12, -v65
	v_sub_f32_e32 v66, v36, v33
	v_add_f32_e32 v1, v1, v40
	v_add_f32_e32 v40, v10, v6
	v_mul_f32_e32 v67, 0xbf4178ce, v66
	v_sub_f32_e32 v69, v35, v32
	v_fma_f32 v2, v40, s7, -v67
	v_add_f32_e32 v68, v14, v5
	v_mul_f32_e32 v70, 0x3f68dda4, v69
	v_sub_f32_e32 v71, v12, v4
	v_add_f32_e32 v1, v2, v1
	v_fma_f32 v2, v68, s10, -v70
	v_mul_f32_e32 v72, 0xbf7d64f0, v71
	v_add_f32_e32 v2, v2, v1
	v_add_f32_e32 v73, v30, v31
	v_mov_b32_e32 v1, v72
	v_sub_f32_e32 v75, v30, v31
	v_fmac_f32_e32 v1, 0xbe11bafb, v73
	v_add_f32_e32 v74, v12, v4
	v_mul_f32_e32 v76, 0xbf7d64f0, v75
	v_add_f32_e32 v1, v1, v0
	v_fma_f32 v0, v74, s11, -v76
	v_mul_f32_e32 v77, 0x3f7d64f0, v11
	v_add_f32_e32 v0, v0, v2
	v_mov_b32_e32 v2, v77
	v_fmac_f32_e32 v2, 0xbe11bafb, v59
	v_add_f32_e32 v2, v2, v41
	v_mul_f32_e32 v41, 0xbf0a6770, v15
	v_mov_b32_e32 v3, v41
	v_fmac_f32_e32 v3, 0x3f575c64, v61
	v_mul_f32_e32 v78, 0xbe903f40, v26
	v_add_f32_e32 v2, v3, v2
	v_mov_b32_e32 v3, v78
	v_fmac_f32_e32 v3, 0xbf75a155, v63
	v_mul_f32_e32 v79, 0x3f7d64f0, v27
	v_add_f32_e32 v2, v3, v2
	v_fma_f32 v3, v64, s11, -v79
	v_add_f32_e32 v3, v3, v45
	v_mul_f32_e32 v45, 0xbf0a6770, v66
	v_fma_f32 v18, v40, s12, -v45
	v_mul_f32_e32 v80, 0xbe903f40, v69
	v_add_f32_e32 v3, v18, v3
	v_fma_f32 v18, v68, s6, -v80
	v_mul_f32_e32 v81, 0x3f68dda4, v71
	v_add_f32_e32 v18, v18, v3
	v_mov_b32_e32 v3, v81
	v_fmac_f32_e32 v3, 0x3ed4b147, v73
	v_mul_f32_e32 v82, 0x3f68dda4, v75
	v_add_f32_e32 v3, v3, v2
	v_fma_f32 v2, v74, s10, -v82
	v_mul_f32_e32 v83, 0x3e903f40, v11
	v_add_f32_e32 v2, v2, v18
	v_mov_b32_e32 v18, v83
	v_fmac_f32_e32 v18, 0xbf75a155, v59
	v_add_f32_e32 v18, v18, v42
	v_mul_f32_e32 v42, 0x3f68dda4, v15
	v_mov_b32_e32 v19, v42
	v_fmac_f32_e32 v19, 0x3ed4b147, v61
	v_mul_f32_e32 v84, 0xbf0a6770, v26
	v_add_f32_e32 v18, v19, v18
	v_mov_b32_e32 v19, v84
	v_fmac_f32_e32 v19, 0x3f575c64, v63
	v_mul_f32_e32 v85, 0x3e903f40, v27
	v_add_f32_e32 v18, v19, v18
	v_fma_f32 v19, v64, s6, -v85
	v_add_f32_e32 v19, v19, v46
	v_mul_f32_e32 v46, 0x3f68dda4, v66
	v_fma_f32 v20, v40, s10, -v46
	v_mul_f32_e32 v86, 0xbf0a6770, v69
	v_add_f32_e32 v19, v20, v19
	v_fma_f32 v20, v68, s12, -v86
	v_mul_f32_e32 v87, 0xbf4178ce, v71
	v_add_f32_e32 v20, v20, v19
	v_mov_b32_e32 v19, v87
	v_fmac_f32_e32 v19, 0xbf27a4f4, v73
	v_mul_f32_e32 v88, 0xbf4178ce, v75
	v_add_f32_e32 v19, v19, v18
	v_fma_f32 v18, v74, s7, -v88
	v_mul_f32_e32 v89, 0xbf4178ce, v11
	v_add_f32_e32 v18, v18, v20
	v_mov_b32_e32 v20, v89
	v_fmac_f32_e32 v20, 0xbf27a4f4, v59
	v_add_f32_e32 v20, v20, v43
	v_mul_f32_e32 v43, 0x3e903f40, v15
	v_mov_b32_e32 v21, v43
	v_fmac_f32_e32 v21, 0xbf75a155, v61
	v_mul_f32_e32 v90, 0x3f7d64f0, v26
	v_add_f32_e32 v20, v21, v20
	v_mov_b32_e32 v21, v90
	v_fmac_f32_e32 v21, 0xbe11bafb, v63
	v_mul_f32_e32 v91, 0xbf4178ce, v27
	v_add_f32_e32 v20, v21, v20
	v_fma_f32 v21, v64, s7, -v91
	v_mul_f32_e32 v92, 0x3e903f40, v66
	v_add_f32_e32 v9, v21, v9
	v_fma_f32 v21, v40, s6, -v92
	;; [unrolled: 3-line block ×3, first 2 shown]
	v_mul_f32_e32 v94, 0x3f0a6770, v71
	v_add_f32_e32 v9, v21, v9
	v_mov_b32_e32 v21, v94
	v_fmac_f32_e32 v21, 0x3f575c64, v73
	v_mul_f32_e32 v95, 0x3f0a6770, v75
	v_add_f32_e32 v21, v21, v20
	v_fma_f32 v20, v74, s12, -v95
	v_mul_f32_e32 v96, 0xbf68dda4, v11
	v_add_f32_e32 v20, v20, v9
	v_mov_b32_e32 v9, v96
	v_mul_f32_e32 v15, 0xbf7d64f0, v15
	v_fmac_f32_e32 v9, 0x3ed4b147, v59
	v_mov_b32_e32 v11, v15
	v_add_f32_e32 v9, v9, v44
	v_fmac_f32_e32 v11, 0xbe11bafb, v61
	v_mul_f32_e32 v44, 0xbf4178ce, v26
	v_add_f32_e32 v9, v11, v9
	v_mov_b32_e32 v11, v44
	v_fmac_f32_e32 v11, 0xbf27a4f4, v63
	v_mul_f32_e32 v97, 0xbf68dda4, v27
	v_add_f32_e32 v9, v11, v9
	v_fma_f32 v11, v64, s10, -v97
	v_add_f32_e32 v11, v11, v47
	v_mul_f32_e32 v47, 0xbf7d64f0, v66
	v_add_f32_e32 v8, v49, v8
	v_fma_f32 v26, v40, s11, -v47
	v_mul_f32_e32 v66, 0xbf4178ce, v69
	v_add_f32_e32 v8, v8, v10
	v_add_f32_e32 v11, v26, v11
	v_fma_f32 v26, v68, s7, -v66
	v_mul_f32_e32 v69, 0xbe903f40, v71
	v_add_f32_e32 v8, v8, v14
	v_add_f32_e32 v11, v26, v11
	v_mov_b32_e32 v26, v69
	v_add_f32_e32 v8, v8, v12
	v_fmac_f32_e32 v26, 0xbf75a155, v73
	v_mul_f32_e32 v71, 0xbe903f40, v75
	v_add_f32_e32 v4, v8, v4
	v_add_f32_e32 v27, v26, v9
	v_fma_f32 v9, v74, s6, -v71
	v_add_f32_e32 v4, v4, v5
	v_add_f32_e32 v26, v9, v11
	;; [unrolled: 1-line block ×6, first 2 shown]
	v_fma_f32 v6, v59, s12, -v58
	v_add_f32_e32 v9, v9, v35
	v_add_f32_e32 v4, v4, v7
	;; [unrolled: 1-line block ×3, first 2 shown]
	v_fma_f32 v7, v61, s7, -v60
	v_add_f32_e32 v9, v9, v30
	v_add_f32_e32 v6, v7, v6
	v_fma_f32 v7, v63, s10, -v62
	v_fmac_f32_e32 v65, 0x3f575c64, v64
	v_add_f32_e32 v9, v9, v31
	v_add_f32_e32 v6, v7, v6
	;; [unrolled: 1-line block ×3, first 2 shown]
	v_fmac_f32_e32 v67, 0xbf27a4f4, v40
	v_add_f32_e32 v9, v9, v32
	v_add_f32_e32 v7, v67, v7
	v_fmac_f32_e32 v70, 0x3ed4b147, v68
	v_add_f32_e32 v9, v9, v33
	v_add_f32_e32 v8, v70, v7
	v_fma_f32 v7, v73, s11, -v72
	v_fmac_f32_e32 v76, 0xbe11bafb, v74
	v_add_f32_e32 v9, v9, v34
	v_add_f32_e32 v7, v7, v6
	;; [unrolled: 1-line block ×3, first 2 shown]
	v_fma_f32 v8, v59, s11, -v77
	v_add_f32_e32 v5, v9, v29
	v_add_f32_e32 v8, v8, v52
	v_fma_f32 v9, v61, s12, -v41
	v_add_f32_e32 v8, v9, v8
	v_fma_f32 v9, v63, s6, -v78
	v_fmac_f32_e32 v79, 0xbe11bafb, v64
	v_add_f32_e32 v8, v9, v8
	v_add_f32_e32 v9, v79, v53
	v_fmac_f32_e32 v45, 0x3f575c64, v40
	v_add_f32_e32 v9, v45, v9
	v_fmac_f32_e32 v80, 0xbf75a155, v68
	v_add_f32_e32 v10, v80, v9
	v_fma_f32 v9, v73, s10, -v81
	v_fmac_f32_e32 v82, 0x3ed4b147, v74
	v_add_f32_e32 v9, v9, v8
	v_add_f32_e32 v8, v82, v10
	v_fma_f32 v10, v59, s6, -v83
	v_add_f32_e32 v10, v10, v54
	v_fma_f32 v11, v61, s10, -v42
	v_add_f32_e32 v10, v11, v10
	v_fma_f32 v11, v63, s12, -v84
	v_fmac_f32_e32 v85, 0xbf75a155, v64
	v_add_f32_e32 v10, v11, v10
	v_add_f32_e32 v11, v85, v38
	v_fmac_f32_e32 v46, 0x3ed4b147, v40
	v_add_f32_e32 v11, v46, v11
	v_fmac_f32_e32 v86, 0x3f575c64, v68
	v_add_f32_e32 v12, v86, v11
	v_fma_f32 v11, v73, s7, -v87
	v_fmac_f32_e32 v88, 0xbf27a4f4, v74
	v_add_f32_e32 v11, v11, v10
	v_add_f32_e32 v10, v88, v12
	v_fma_f32 v12, v59, s7, -v89
	;; [unrolled: 16-line block ×3, first 2 shown]
	v_add_f32_e32 v14, v14, v56
	v_fma_f32 v15, v61, s11, -v15
	v_add_f32_e32 v14, v15, v14
	v_fma_f32 v15, v63, s7, -v44
	v_fmac_f32_e32 v97, 0x3ed4b147, v64
	v_add_f32_e32 v14, v15, v14
	v_fma_f32 v15, v73, s6, -v69
	v_add_f32_e32 v29, v97, v57
	v_fmac_f32_e32 v47, 0xbe11bafb, v40
	v_add_f32_e32 v15, v15, v14
	v_add_f32_e32 v14, v47, v29
	v_mov_b32_e32 v29, 3
	v_lshlrev_b32_sdwa v23, v29, v23 dst_sel:DWORD dst_unused:UNUSED_PAD src0_sel:DWORD src1_sel:BYTE_0
	v_add3_u32 v17, 0, v17, v23
	v_fmac_f32_e32 v66, 0xbf27a4f4, v68
	ds_write2_b64 v17, v[4:5], v[26:27] offset1:42
	ds_write2_b64 v17, v[20:21], v[18:19] offset0:84 offset1:126
	ds_write2_b64 v17, v[2:3], v[0:1] offset0:168 offset1:210
	v_add_u32_e32 v0, 0x400, v17
	v_add_f32_e32 v14, v66, v14
	v_fmac_f32_e32 v71, 0xbf75a155, v74
	ds_write2_b64 v0, v[6:7], v[8:9] offset0:124 offset1:166
	v_add_u32_e32 v0, 0x800, v17
	v_add_f32_e32 v14, v71, v14
	ds_write2_b64 v0, v[10:11], v[12:13] offset0:80 offset1:122
	ds_write_b64 v17, v[14:15] offset:3360
.LBB0_25:
	s_or_b64 exec, exec, s[4:5]
	v_lshlrev_b32_e32 v0, 1, v22
	v_mov_b32_e32 v1, 0
	v_lshlrev_b64 v[2:3], 3, v[0:1]
	v_mov_b32_e32 v17, v1
	v_mov_b32_e32 v0, s9
	v_add_co_u32_e32 v2, vcc, s8, v2
	v_lshlrev_b64 v[6:7], 3, v[16:17]
	v_addc_co_u32_e32 v3, vcc, v0, v3, vcc
	v_add_co_u32_e32 v6, vcc, s8, v6
	s_waitcnt lgkmcnt(0)
	s_barrier
	global_load_dwordx4 v[2:5], v[2:3], off offset:3680
	v_addc_co_u32_e32 v7, vcc, v0, v7, vcc
	global_load_dwordx4 v[6:9], v[6:7], off offset:3680
	v_add_u32_e32 v0, 0xe00, v28
	ds_read2_b64 v[10:13], v28 offset1:231
	v_add_u32_e32 v23, 0x1c80, v28
	ds_read2_b64 v[14:17], v0 offset0:14 offset1:245
	ds_read2_b64 v[18:21], v23 offset0:12 offset1:243
	s_waitcnt vmcnt(0) lgkmcnt(0)
	s_barrier
	v_mul_f32_e32 v26, v3, v15
	v_mul_f32_e32 v3, v3, v14
	;; [unrolled: 1-line block ×4, first 2 shown]
	v_fma_f32 v14, v2, v14, -v26
	v_fmac_f32_e32 v3, v2, v15
	v_fma_f32 v2, v4, v18, -v27
	v_fmac_f32_e32 v5, v4, v19
	v_mul_f32_e32 v4, v7, v17
	v_mul_f32_e32 v7, v7, v16
	;; [unrolled: 1-line block ×4, first 2 shown]
	v_fma_f32 v16, v6, v16, -v4
	v_fmac_f32_e32 v7, v6, v17
	v_fma_f32 v15, v8, v20, -v15
	v_fmac_f32_e32 v9, v8, v21
	v_add_f32_e32 v4, v14, v10
	v_add_f32_e32 v6, v14, v2
	;; [unrolled: 1-line block ×4, first 2 shown]
	v_sub_f32_e32 v14, v14, v2
	v_add_f32_e32 v2, v4, v2
	v_fma_f32 v4, -0.5, v6, v10
	v_add_f32_e32 v10, v16, v15
	v_add_f32_e32 v19, v7, v9
	v_sub_f32_e32 v17, v3, v5
	v_add_f32_e32 v3, v8, v5
	v_fma_f32 v5, -0.5, v18, v11
	v_add_f32_e32 v8, v12, v16
	v_sub_f32_e32 v18, v7, v9
	v_add_f32_e32 v11, v13, v7
	v_sub_f32_e32 v16, v16, v15
	v_fma_f32 v12, -0.5, v10, v12
	v_fmac_f32_e32 v13, -0.5, v19
	v_mov_b32_e32 v6, v4
	v_fmac_f32_e32 v4, 0xbf5db3d7, v17
	v_mov_b32_e32 v7, v5
	v_fmac_f32_e32 v5, 0x3f5db3d7, v14
	v_add_f32_e32 v8, v8, v15
	v_add_f32_e32 v9, v11, v9
	v_mov_b32_e32 v10, v12
	v_fmac_f32_e32 v12, 0xbf5db3d7, v18
	v_mov_b32_e32 v11, v13
	v_fmac_f32_e32 v13, 0x3f5db3d7, v16
	v_fmac_f32_e32 v6, 0x3f5db3d7, v17
	;; [unrolled: 1-line block ×3, first 2 shown]
	ds_write2_b64 v28, v[2:3], v[8:9] offset1:231
	v_fmac_f32_e32 v10, 0x3f5db3d7, v18
	v_fmac_f32_e32 v11, 0xbf5db3d7, v16
	ds_write2_b64 v23, v[4:5], v[12:13] offset0:12 offset1:243
	ds_write2_b64 v0, v[6:7], v[10:11] offset0:14 offset1:245
	s_waitcnt lgkmcnt(0)
	s_barrier
	s_and_saveexec_b64 s[4:5], s[0:1]
	s_cbranch_execz .LBB0_27
; %bb.26:
	v_lshl_add_u32 v8, v22, 3, 0
	v_mov_b32_e32 v23, v1
	ds_read2_b64 v[2:5], v8 offset1:231
	v_mov_b32_e32 v0, s3
	v_add_co_u32_e32 v9, vcc, s2, v24
	v_lshlrev_b64 v[6:7], 3, v[22:23]
	v_addc_co_u32_e32 v10, vcc, v0, v25, vcc
	v_add_co_u32_e32 v6, vcc, v9, v6
	v_addc_co_u32_e32 v7, vcc, v10, v7, vcc
	v_add_u32_e32 v0, 0xe7, v22
	s_waitcnt lgkmcnt(0)
	global_store_dwordx2 v[6:7], v[2:3], off
	v_lshlrev_b64 v[2:3], 3, v[0:1]
	v_add_u32_e32 v0, 0x1ce, v22
	v_add_co_u32_e32 v2, vcc, v9, v2
	v_addc_co_u32_e32 v3, vcc, v10, v3, vcc
	global_store_dwordx2 v[2:3], v[4:5], off
	v_add_u32_e32 v2, 0xe00, v8
	ds_read2_b64 v[2:5], v2 offset0:14 offset1:245
	v_lshlrev_b64 v[6:7], 3, v[0:1]
	v_add_u32_e32 v0, 0x2b5, v22
	v_add_co_u32_e32 v6, vcc, v9, v6
	v_addc_co_u32_e32 v7, vcc, v10, v7, vcc
	s_waitcnt lgkmcnt(0)
	global_store_dwordx2 v[6:7], v[2:3], off
	v_lshlrev_b64 v[2:3], 3, v[0:1]
	v_add_u32_e32 v0, 0x39c, v22
	v_add_co_u32_e32 v2, vcc, v9, v2
	v_addc_co_u32_e32 v3, vcc, v10, v3, vcc
	global_store_dwordx2 v[2:3], v[4:5], off
	v_add_u32_e32 v2, 0x1c80, v8
	v_lshlrev_b64 v[6:7], 3, v[0:1]
	ds_read2_b64 v[2:5], v2 offset0:12 offset1:243
	v_add_u32_e32 v0, 0x483, v22
	v_add_co_u32_e32 v6, vcc, v9, v6
	v_lshlrev_b64 v[0:1], 3, v[0:1]
	v_addc_co_u32_e32 v7, vcc, v10, v7, vcc
	v_add_co_u32_e32 v0, vcc, v9, v0
	v_addc_co_u32_e32 v1, vcc, v10, v1, vcc
	s_waitcnt lgkmcnt(0)
	global_store_dwordx2 v[6:7], v[2:3], off
	global_store_dwordx2 v[0:1], v[4:5], off
.LBB0_27:
	s_endpgm
	.section	.rodata,"a",@progbits
	.p2align	6, 0x0
	.amdhsa_kernel fft_rtc_fwd_len1386_factors_2_7_3_11_3_wgs_231_tpt_231_halfLds_sp_ip_CI_unitstride_sbrr_C2R_dirReg
		.amdhsa_group_segment_fixed_size 0
		.amdhsa_private_segment_fixed_size 0
		.amdhsa_kernarg_size 88
		.amdhsa_user_sgpr_count 6
		.amdhsa_user_sgpr_private_segment_buffer 1
		.amdhsa_user_sgpr_dispatch_ptr 0
		.amdhsa_user_sgpr_queue_ptr 0
		.amdhsa_user_sgpr_kernarg_segment_ptr 1
		.amdhsa_user_sgpr_dispatch_id 0
		.amdhsa_user_sgpr_flat_scratch_init 0
		.amdhsa_user_sgpr_private_segment_size 0
		.amdhsa_uses_dynamic_stack 0
		.amdhsa_system_sgpr_private_segment_wavefront_offset 0
		.amdhsa_system_sgpr_workgroup_id_x 1
		.amdhsa_system_sgpr_workgroup_id_y 0
		.amdhsa_system_sgpr_workgroup_id_z 0
		.amdhsa_system_sgpr_workgroup_info 0
		.amdhsa_system_vgpr_workitem_id 0
		.amdhsa_next_free_vgpr 98
		.amdhsa_next_free_sgpr 22
		.amdhsa_reserve_vcc 1
		.amdhsa_reserve_flat_scratch 0
		.amdhsa_float_round_mode_32 0
		.amdhsa_float_round_mode_16_64 0
		.amdhsa_float_denorm_mode_32 3
		.amdhsa_float_denorm_mode_16_64 3
		.amdhsa_dx10_clamp 1
		.amdhsa_ieee_mode 1
		.amdhsa_fp16_overflow 0
		.amdhsa_exception_fp_ieee_invalid_op 0
		.amdhsa_exception_fp_denorm_src 0
		.amdhsa_exception_fp_ieee_div_zero 0
		.amdhsa_exception_fp_ieee_overflow 0
		.amdhsa_exception_fp_ieee_underflow 0
		.amdhsa_exception_fp_ieee_inexact 0
		.amdhsa_exception_int_div_zero 0
	.end_amdhsa_kernel
	.text
.Lfunc_end0:
	.size	fft_rtc_fwd_len1386_factors_2_7_3_11_3_wgs_231_tpt_231_halfLds_sp_ip_CI_unitstride_sbrr_C2R_dirReg, .Lfunc_end0-fft_rtc_fwd_len1386_factors_2_7_3_11_3_wgs_231_tpt_231_halfLds_sp_ip_CI_unitstride_sbrr_C2R_dirReg
                                        ; -- End function
	.section	.AMDGPU.csdata,"",@progbits
; Kernel info:
; codeLenInByte = 6464
; NumSgprs: 26
; NumVgprs: 98
; ScratchSize: 0
; MemoryBound: 0
; FloatMode: 240
; IeeeMode: 1
; LDSByteSize: 0 bytes/workgroup (compile time only)
; SGPRBlocks: 3
; VGPRBlocks: 24
; NumSGPRsForWavesPerEU: 26
; NumVGPRsForWavesPerEU: 98
; Occupancy: 2
; WaveLimiterHint : 1
; COMPUTE_PGM_RSRC2:SCRATCH_EN: 0
; COMPUTE_PGM_RSRC2:USER_SGPR: 6
; COMPUTE_PGM_RSRC2:TRAP_HANDLER: 0
; COMPUTE_PGM_RSRC2:TGID_X_EN: 1
; COMPUTE_PGM_RSRC2:TGID_Y_EN: 0
; COMPUTE_PGM_RSRC2:TGID_Z_EN: 0
; COMPUTE_PGM_RSRC2:TIDIG_COMP_CNT: 0
	.type	__hip_cuid_827b0997d2f15593,@object ; @__hip_cuid_827b0997d2f15593
	.section	.bss,"aw",@nobits
	.globl	__hip_cuid_827b0997d2f15593
__hip_cuid_827b0997d2f15593:
	.byte	0                               ; 0x0
	.size	__hip_cuid_827b0997d2f15593, 1

	.ident	"AMD clang version 19.0.0git (https://github.com/RadeonOpenCompute/llvm-project roc-6.4.0 25133 c7fe45cf4b819c5991fe208aaa96edf142730f1d)"
	.section	".note.GNU-stack","",@progbits
	.addrsig
	.addrsig_sym __hip_cuid_827b0997d2f15593
	.amdgpu_metadata
---
amdhsa.kernels:
  - .args:
      - .actual_access:  read_only
        .address_space:  global
        .offset:         0
        .size:           8
        .value_kind:     global_buffer
      - .offset:         8
        .size:           8
        .value_kind:     by_value
      - .actual_access:  read_only
        .address_space:  global
        .offset:         16
        .size:           8
        .value_kind:     global_buffer
      - .actual_access:  read_only
        .address_space:  global
        .offset:         24
        .size:           8
        .value_kind:     global_buffer
      - .offset:         32
        .size:           8
        .value_kind:     by_value
      - .actual_access:  read_only
        .address_space:  global
        .offset:         40
        .size:           8
        .value_kind:     global_buffer
      - .actual_access:  read_only
        .address_space:  global
        .offset:         48
        .size:           8
        .value_kind:     global_buffer
      - .offset:         56
        .size:           4
        .value_kind:     by_value
      - .actual_access:  read_only
        .address_space:  global
        .offset:         64
        .size:           8
        .value_kind:     global_buffer
      - .actual_access:  read_only
        .address_space:  global
        .offset:         72
        .size:           8
        .value_kind:     global_buffer
      - .address_space:  global
        .offset:         80
        .size:           8
        .value_kind:     global_buffer
    .group_segment_fixed_size: 0
    .kernarg_segment_align: 8
    .kernarg_segment_size: 88
    .language:       OpenCL C
    .language_version:
      - 2
      - 0
    .max_flat_workgroup_size: 231
    .name:           fft_rtc_fwd_len1386_factors_2_7_3_11_3_wgs_231_tpt_231_halfLds_sp_ip_CI_unitstride_sbrr_C2R_dirReg
    .private_segment_fixed_size: 0
    .sgpr_count:     26
    .sgpr_spill_count: 0
    .symbol:         fft_rtc_fwd_len1386_factors_2_7_3_11_3_wgs_231_tpt_231_halfLds_sp_ip_CI_unitstride_sbrr_C2R_dirReg.kd
    .uniform_work_group_size: 1
    .uses_dynamic_stack: false
    .vgpr_count:     98
    .vgpr_spill_count: 0
    .wavefront_size: 64
amdhsa.target:   amdgcn-amd-amdhsa--gfx906
amdhsa.version:
  - 1
  - 2
...

	.end_amdgpu_metadata
